;; amdgpu-corpus repo=llvm/llvm-project kind=harvested arch=n/a opt=n/a
// NOTE: Assertions have been autogenerated by utils/update_mc_test_checks.py UTC_ARGS: --unique --sort --version 5
// RUN: not llvm-mc -triple=amdgcn -mcpu=gfx1200 %s -filetype=null 2>&1 | FileCheck --check-prefix=GFX12 --implicit-check-not=error: %s

v_pk_fmac_f16 v0, v1, v2 quad_perm:[1,2,3,0]
// GFX12: :[[@LINE-1]]:26: error: not a valid operand.

v_pk_fmac_f16 v0, v1, v2 quad_perm:[1,2,3,0] row_mask:0x0 bank_mask:0x0
// GFX12: :[[@LINE-1]]:26: error: not a valid operand.

v_pk_fmac_f16 v5, v1, v2 dpp8:[7,6,5,4,3,2,1,0]
// GFX12: :[[@LINE-1]]:26: error: not a valid operand.

v_pk_fmac_f16_dpp v0, v1, v2 quad_perm:[1,2,3,0]
// GFX12: :[[@LINE-1]]:1: error: dpp variant of this instruction is not supported

v_pk_fmac_f16_dpp v0, v1, v2 quad_perm:[1,2,3,0] row_mask:0x0 bank_mask:0x0
// GFX12: :[[@LINE-1]]:1: error: dpp variant of this instruction is not supported

v_pk_fmac_f16_dpp v5, v1, v2 dpp8:[7,6,5,4,3,2,1,0]
// GFX12: :[[@LINE-1]]:1: error: dpp variant of this instruction is not supported
